;; amdgpu-corpus repo=ROCm/rocFFT kind=compiled arch=gfx1201 opt=O3
	.text
	.amdgcn_target "amdgcn-amd-amdhsa--gfx1201"
	.amdhsa_code_object_version 6
	.protected	fft_rtc_back_len144_factors_6_6_4_wgs_120_tpt_12_halfLds_dp_ip_CI_sbrr_dirReg ; -- Begin function fft_rtc_back_len144_factors_6_6_4_wgs_120_tpt_12_halfLds_dp_ip_CI_sbrr_dirReg
	.globl	fft_rtc_back_len144_factors_6_6_4_wgs_120_tpt_12_halfLds_dp_ip_CI_sbrr_dirReg
	.p2align	8
	.type	fft_rtc_back_len144_factors_6_6_4_wgs_120_tpt_12_halfLds_dp_ip_CI_sbrr_dirReg,@function
fft_rtc_back_len144_factors_6_6_4_wgs_120_tpt_12_halfLds_dp_ip_CI_sbrr_dirReg: ; @fft_rtc_back_len144_factors_6_6_4_wgs_120_tpt_12_halfLds_dp_ip_CI_sbrr_dirReg
; %bb.0:
	s_clause 0x1
	s_load_b64 s[12:13], s[0:1], 0x18
	s_load_b128 s[4:7], s[0:1], 0x0
	v_mul_u32_u24_e32 v1, 0x1556, v0
	v_mov_b32_e32 v3, 0
	s_load_b64 s[10:11], s[0:1], 0x50
	s_wait_kmcnt 0x0
	s_load_b64 s[8:9], s[12:13], 0x0
	v_lshrrev_b32_e32 v1, 16, v1
	v_cmp_lt_u64_e64 s2, s[6:7], 2
	s_delay_alu instid0(VALU_DEP_2) | instskip(SKIP_2) | instid1(VALU_DEP_4)
	v_mad_co_u64_u32 v[50:51], null, ttmp9, 10, v[1:2]
	v_mov_b32_e32 v1, 0
	v_dual_mov_b32 v2, 0 :: v_dual_mov_b32 v51, v3
	s_and_b32 vcc_lo, exec_lo, s2
	s_delay_alu instid0(VALU_DEP_1)
	v_dual_mov_b32 v7, v50 :: v_dual_mov_b32 v8, v51
	s_cbranch_vccnz .LBB0_8
; %bb.1:
	s_load_b64 s[2:3], s[0:1], 0x10
	v_mov_b32_e32 v1, 0
	v_dual_mov_b32 v2, 0 :: v_dual_mov_b32 v5, v50
	v_mov_b32_e32 v6, v51
	s_add_nc_u64 s[14:15], s[12:13], 8
	s_mov_b64 s[16:17], 1
	s_wait_kmcnt 0x0
	s_add_nc_u64 s[18:19], s[2:3], 8
	s_mov_b32 s3, 0
.LBB0_2:                                ; =>This Inner Loop Header: Depth=1
	s_load_b64 s[20:21], s[18:19], 0x0
                                        ; implicit-def: $vgpr7_vgpr8
	s_mov_b32 s2, exec_lo
	s_wait_kmcnt 0x0
	v_or_b32_e32 v4, s21, v6
	s_delay_alu instid0(VALU_DEP_1)
	v_cmpx_ne_u64_e32 0, v[3:4]
	s_wait_alu 0xfffe
	s_xor_b32 s22, exec_lo, s2
	s_cbranch_execz .LBB0_4
; %bb.3:                                ;   in Loop: Header=BB0_2 Depth=1
	s_cvt_f32_u32 s2, s20
	s_cvt_f32_u32 s23, s21
	s_sub_nc_u64 s[26:27], 0, s[20:21]
	s_wait_alu 0xfffe
	s_delay_alu instid0(SALU_CYCLE_1) | instskip(SKIP_1) | instid1(SALU_CYCLE_2)
	s_fmamk_f32 s2, s23, 0x4f800000, s2
	s_wait_alu 0xfffe
	v_s_rcp_f32 s2, s2
	s_delay_alu instid0(TRANS32_DEP_1) | instskip(SKIP_1) | instid1(SALU_CYCLE_2)
	s_mul_f32 s2, s2, 0x5f7ffffc
	s_wait_alu 0xfffe
	s_mul_f32 s23, s2, 0x2f800000
	s_wait_alu 0xfffe
	s_delay_alu instid0(SALU_CYCLE_2) | instskip(SKIP_1) | instid1(SALU_CYCLE_2)
	s_trunc_f32 s23, s23
	s_wait_alu 0xfffe
	s_fmamk_f32 s2, s23, 0xcf800000, s2
	s_cvt_u32_f32 s25, s23
	s_wait_alu 0xfffe
	s_delay_alu instid0(SALU_CYCLE_1) | instskip(SKIP_1) | instid1(SALU_CYCLE_2)
	s_cvt_u32_f32 s24, s2
	s_wait_alu 0xfffe
	s_mul_u64 s[28:29], s[26:27], s[24:25]
	s_wait_alu 0xfffe
	s_mul_hi_u32 s31, s24, s29
	s_mul_i32 s30, s24, s29
	s_mul_hi_u32 s2, s24, s28
	s_mul_i32 s33, s25, s28
	s_wait_alu 0xfffe
	s_add_nc_u64 s[30:31], s[2:3], s[30:31]
	s_mul_hi_u32 s23, s25, s28
	s_mul_hi_u32 s34, s25, s29
	s_add_co_u32 s2, s30, s33
	s_wait_alu 0xfffe
	s_add_co_ci_u32 s2, s31, s23
	s_mul_i32 s28, s25, s29
	s_add_co_ci_u32 s29, s34, 0
	s_wait_alu 0xfffe
	s_add_nc_u64 s[28:29], s[2:3], s[28:29]
	s_wait_alu 0xfffe
	v_add_co_u32 v4, s2, s24, s28
	s_delay_alu instid0(VALU_DEP_1) | instskip(SKIP_1) | instid1(VALU_DEP_1)
	s_cmp_lg_u32 s2, 0
	s_add_co_ci_u32 s25, s25, s29
	v_readfirstlane_b32 s24, v4
	s_wait_alu 0xfffe
	s_delay_alu instid0(VALU_DEP_1)
	s_mul_u64 s[26:27], s[26:27], s[24:25]
	s_wait_alu 0xfffe
	s_mul_hi_u32 s29, s24, s27
	s_mul_i32 s28, s24, s27
	s_mul_hi_u32 s2, s24, s26
	s_mul_i32 s30, s25, s26
	s_wait_alu 0xfffe
	s_add_nc_u64 s[28:29], s[2:3], s[28:29]
	s_mul_hi_u32 s23, s25, s26
	s_mul_hi_u32 s24, s25, s27
	s_wait_alu 0xfffe
	s_add_co_u32 s2, s28, s30
	s_add_co_ci_u32 s2, s29, s23
	s_mul_i32 s26, s25, s27
	s_add_co_ci_u32 s27, s24, 0
	s_wait_alu 0xfffe
	s_add_nc_u64 s[26:27], s[2:3], s[26:27]
	s_wait_alu 0xfffe
	v_add_co_u32 v4, s2, v4, s26
	s_delay_alu instid0(VALU_DEP_1) | instskip(SKIP_1) | instid1(VALU_DEP_1)
	s_cmp_lg_u32 s2, 0
	s_add_co_ci_u32 s2, s25, s27
	v_mul_hi_u32 v13, v5, v4
	s_wait_alu 0xfffe
	v_mad_co_u64_u32 v[7:8], null, v5, s2, 0
	v_mad_co_u64_u32 v[9:10], null, v6, v4, 0
	;; [unrolled: 1-line block ×3, first 2 shown]
	s_delay_alu instid0(VALU_DEP_3) | instskip(SKIP_1) | instid1(VALU_DEP_4)
	v_add_co_u32 v4, vcc_lo, v13, v7
	s_wait_alu 0xfffd
	v_add_co_ci_u32_e32 v7, vcc_lo, 0, v8, vcc_lo
	s_delay_alu instid0(VALU_DEP_2) | instskip(SKIP_1) | instid1(VALU_DEP_2)
	v_add_co_u32 v4, vcc_lo, v4, v9
	s_wait_alu 0xfffd
	v_add_co_ci_u32_e32 v4, vcc_lo, v7, v10, vcc_lo
	s_wait_alu 0xfffd
	v_add_co_ci_u32_e32 v7, vcc_lo, 0, v12, vcc_lo
	s_delay_alu instid0(VALU_DEP_2) | instskip(SKIP_1) | instid1(VALU_DEP_2)
	v_add_co_u32 v4, vcc_lo, v4, v11
	s_wait_alu 0xfffd
	v_add_co_ci_u32_e32 v9, vcc_lo, 0, v7, vcc_lo
	s_delay_alu instid0(VALU_DEP_2) | instskip(SKIP_1) | instid1(VALU_DEP_3)
	v_mul_lo_u32 v10, s21, v4
	v_mad_co_u64_u32 v[7:8], null, s20, v4, 0
	v_mul_lo_u32 v11, s20, v9
	s_delay_alu instid0(VALU_DEP_2) | instskip(NEXT) | instid1(VALU_DEP_2)
	v_sub_co_u32 v7, vcc_lo, v5, v7
	v_add3_u32 v8, v8, v11, v10
	s_delay_alu instid0(VALU_DEP_1) | instskip(SKIP_1) | instid1(VALU_DEP_1)
	v_sub_nc_u32_e32 v10, v6, v8
	s_wait_alu 0xfffd
	v_subrev_co_ci_u32_e64 v10, s2, s21, v10, vcc_lo
	v_add_co_u32 v11, s2, v4, 2
	s_wait_alu 0xf1ff
	v_add_co_ci_u32_e64 v12, s2, 0, v9, s2
	v_sub_co_u32 v13, s2, v7, s20
	v_sub_co_ci_u32_e32 v8, vcc_lo, v6, v8, vcc_lo
	s_wait_alu 0xf1ff
	v_subrev_co_ci_u32_e64 v10, s2, 0, v10, s2
	s_delay_alu instid0(VALU_DEP_3) | instskip(NEXT) | instid1(VALU_DEP_3)
	v_cmp_le_u32_e32 vcc_lo, s20, v13
	v_cmp_eq_u32_e64 s2, s21, v8
	s_wait_alu 0xfffd
	v_cndmask_b32_e64 v13, 0, -1, vcc_lo
	v_cmp_le_u32_e32 vcc_lo, s21, v10
	s_wait_alu 0xfffd
	v_cndmask_b32_e64 v14, 0, -1, vcc_lo
	v_cmp_le_u32_e32 vcc_lo, s20, v7
	;; [unrolled: 3-line block ×3, first 2 shown]
	s_wait_alu 0xfffd
	v_cndmask_b32_e64 v15, 0, -1, vcc_lo
	v_cmp_eq_u32_e32 vcc_lo, s21, v10
	s_wait_alu 0xf1ff
	s_delay_alu instid0(VALU_DEP_2)
	v_cndmask_b32_e64 v7, v15, v7, s2
	s_wait_alu 0xfffd
	v_cndmask_b32_e32 v10, v14, v13, vcc_lo
	v_add_co_u32 v13, vcc_lo, v4, 1
	s_wait_alu 0xfffd
	v_add_co_ci_u32_e32 v14, vcc_lo, 0, v9, vcc_lo
	s_delay_alu instid0(VALU_DEP_3) | instskip(SKIP_2) | instid1(VALU_DEP_3)
	v_cmp_ne_u32_e32 vcc_lo, 0, v10
	s_wait_alu 0xfffd
	v_cndmask_b32_e32 v10, v13, v11, vcc_lo
	v_cndmask_b32_e32 v8, v14, v12, vcc_lo
	v_cmp_ne_u32_e32 vcc_lo, 0, v7
	s_wait_alu 0xfffd
	s_delay_alu instid0(VALU_DEP_2)
	v_dual_cndmask_b32 v7, v4, v10 :: v_dual_cndmask_b32 v8, v9, v8
.LBB0_4:                                ;   in Loop: Header=BB0_2 Depth=1
	s_wait_alu 0xfffe
	s_and_not1_saveexec_b32 s2, s22
	s_cbranch_execz .LBB0_6
; %bb.5:                                ;   in Loop: Header=BB0_2 Depth=1
	v_cvt_f32_u32_e32 v4, s20
	s_sub_co_i32 s22, 0, s20
	s_delay_alu instid0(VALU_DEP_1) | instskip(NEXT) | instid1(TRANS32_DEP_1)
	v_rcp_iflag_f32_e32 v4, v4
	v_mul_f32_e32 v4, 0x4f7ffffe, v4
	s_delay_alu instid0(VALU_DEP_1) | instskip(SKIP_1) | instid1(VALU_DEP_1)
	v_cvt_u32_f32_e32 v4, v4
	s_wait_alu 0xfffe
	v_mul_lo_u32 v7, s22, v4
	s_delay_alu instid0(VALU_DEP_1) | instskip(NEXT) | instid1(VALU_DEP_1)
	v_mul_hi_u32 v7, v4, v7
	v_add_nc_u32_e32 v4, v4, v7
	s_delay_alu instid0(VALU_DEP_1) | instskip(NEXT) | instid1(VALU_DEP_1)
	v_mul_hi_u32 v4, v5, v4
	v_mul_lo_u32 v7, v4, s20
	v_add_nc_u32_e32 v8, 1, v4
	s_delay_alu instid0(VALU_DEP_2) | instskip(NEXT) | instid1(VALU_DEP_1)
	v_sub_nc_u32_e32 v7, v5, v7
	v_subrev_nc_u32_e32 v9, s20, v7
	v_cmp_le_u32_e32 vcc_lo, s20, v7
	s_wait_alu 0xfffd
	s_delay_alu instid0(VALU_DEP_2) | instskip(NEXT) | instid1(VALU_DEP_1)
	v_dual_cndmask_b32 v7, v7, v9 :: v_dual_cndmask_b32 v4, v4, v8
	v_cmp_le_u32_e32 vcc_lo, s20, v7
	s_delay_alu instid0(VALU_DEP_2) | instskip(SKIP_1) | instid1(VALU_DEP_1)
	v_add_nc_u32_e32 v8, 1, v4
	s_wait_alu 0xfffd
	v_dual_cndmask_b32 v7, v4, v8 :: v_dual_mov_b32 v8, v3
.LBB0_6:                                ;   in Loop: Header=BB0_2 Depth=1
	s_wait_alu 0xfffe
	s_or_b32 exec_lo, exec_lo, s2
	s_load_b64 s[22:23], s[14:15], 0x0
	s_delay_alu instid0(VALU_DEP_1)
	v_mul_lo_u32 v4, v8, s20
	v_mul_lo_u32 v11, v7, s21
	v_mad_co_u64_u32 v[9:10], null, v7, s20, 0
	s_add_nc_u64 s[16:17], s[16:17], 1
	s_add_nc_u64 s[14:15], s[14:15], 8
	s_wait_alu 0xfffe
	v_cmp_ge_u64_e64 s2, s[16:17], s[6:7]
	s_add_nc_u64 s[18:19], s[18:19], 8
	s_delay_alu instid0(VALU_DEP_2) | instskip(NEXT) | instid1(VALU_DEP_3)
	v_add3_u32 v4, v10, v11, v4
	v_sub_co_u32 v5, vcc_lo, v5, v9
	s_wait_alu 0xfffd
	s_delay_alu instid0(VALU_DEP_2) | instskip(SKIP_3) | instid1(VALU_DEP_2)
	v_sub_co_ci_u32_e32 v4, vcc_lo, v6, v4, vcc_lo
	s_and_b32 vcc_lo, exec_lo, s2
	s_wait_kmcnt 0x0
	v_mul_lo_u32 v6, s23, v5
	v_mul_lo_u32 v4, s22, v4
	v_mad_co_u64_u32 v[1:2], null, s22, v5, v[1:2]
	s_delay_alu instid0(VALU_DEP_1)
	v_add3_u32 v2, v6, v2, v4
	s_wait_alu 0xfffe
	s_cbranch_vccnz .LBB0_8
; %bb.7:                                ;   in Loop: Header=BB0_2 Depth=1
	v_dual_mov_b32 v5, v7 :: v_dual_mov_b32 v6, v8
	s_branch .LBB0_2
.LBB0_8:
	s_lshl_b64 s[2:3], s[6:7], 3
	v_mul_hi_u32 v3, 0x15555556, v0
	s_wait_alu 0xfffe
	s_add_nc_u64 s[2:3], s[12:13], s[2:3]
                                        ; implicit-def: $vgpr60
                                        ; implicit-def: $vgpr61
	s_load_b64 s[2:3], s[2:3], 0x0
	s_load_b64 s[0:1], s[0:1], 0x20
	s_delay_alu instid0(VALU_DEP_1) | instskip(NEXT) | instid1(VALU_DEP_1)
	v_mul_u32_u24_e32 v3, 12, v3
	v_sub_nc_u32_e32 v53, v0, v3
	s_delay_alu instid0(VALU_DEP_1)
	v_add_nc_u32_e32 v51, 12, v53
	v_add_nc_u32_e32 v52, 24, v53
	s_wait_kmcnt 0x0
	v_mul_lo_u32 v4, s2, v8
	v_mul_lo_u32 v5, s3, v7
	v_mad_co_u64_u32 v[1:2], null, s2, v7, v[1:2]
	v_cmp_gt_u64_e32 vcc_lo, s[0:1], v[7:8]
	v_cmp_le_u64_e64 s0, s[0:1], v[7:8]
	s_delay_alu instid0(VALU_DEP_3) | instskip(NEXT) | instid1(VALU_DEP_2)
	v_add3_u32 v2, v5, v2, v4
	s_and_saveexec_b32 s1, s0
	s_wait_alu 0xfffe
	s_xor_b32 s0, exec_lo, s1
; %bb.9:
	v_add_nc_u32_e32 v60, 12, v53
	v_add_nc_u32_e32 v61, 24, v53
; %bb.10:
	s_wait_alu 0xfffe
	s_or_saveexec_b32 s1, s0
	v_lshlrev_b64_e32 v[48:49], 4, v[1:2]
	v_or_b32_e32 v55, 48, v53
	v_add_nc_u32_e32 v57, 0x48, v53
	v_add_nc_u32_e32 v54, 0x78, v53
	v_add_nc_u32_e32 v58, 36, v53
	v_add_nc_u32_e32 v56, 0x54, v53
	v_add_nc_u32_e32 v59, 0x6c, v53
                                        ; implicit-def: $vgpr26_vgpr27
                                        ; implicit-def: $vgpr18_vgpr19
                                        ; implicit-def: $vgpr2_vgpr3
                                        ; implicit-def: $vgpr34_vgpr35
                                        ; implicit-def: $vgpr42_vgpr43
                                        ; implicit-def: $vgpr10_vgpr11
                                        ; implicit-def: $vgpr14_vgpr15
                                        ; implicit-def: $vgpr38_vgpr39
                                        ; implicit-def: $vgpr46_vgpr47
                                        ; implicit-def: $vgpr6_vgpr7
                                        ; implicit-def: $vgpr30_vgpr31
                                        ; implicit-def: $vgpr22_vgpr23
	s_wait_alu 0xfffe
	s_xor_b32 exec_lo, exec_lo, s1
	s_cbranch_execz .LBB0_12
; %bb.11:
	v_mad_co_u64_u32 v[0:1], null, s8, v53, 0
	v_mad_co_u64_u32 v[2:3], null, s8, v52, 0
	;; [unrolled: 1-line block ×4, first 2 shown]
	v_add_co_u32 v42, s0, s10, v48
	s_delay_alu instid0(VALU_DEP_4) | instskip(NEXT) | instid1(VALU_DEP_4)
	v_mad_co_u64_u32 v[8:9], null, s9, v53, v[1:2]
	v_mad_co_u64_u32 v[9:10], null, s9, v52, v[3:4]
	s_delay_alu instid0(VALU_DEP_4) | instskip(SKIP_2) | instid1(VALU_DEP_4)
	v_mad_co_u64_u32 v[10:11], null, s9, v55, v[5:6]
	s_wait_alu 0xf1ff
	v_add_co_ci_u32_e64 v43, s0, s11, v49, s0
	v_mov_b32_e32 v1, v8
	v_mad_co_u64_u32 v[7:8], null, s9, v57, v[7:8]
	v_mov_b32_e32 v3, v9
	v_mov_b32_e32 v5, v10
	s_delay_alu instid0(VALU_DEP_4)
	v_lshlrev_b64_e32 v[0:1], 4, v[0:1]
	v_or_b32_e32 v12, 0x60, v53
	v_mad_co_u64_u32 v[10:11], null, s8, v54, 0
	v_lshlrev_b64_e32 v[2:3], 4, v[2:3]
	v_lshlrev_b64_e32 v[4:5], 4, v[4:5]
	v_add_co_u32 v0, s0, v42, v0
	s_wait_alu 0xf1ff
	v_add_co_ci_u32_e64 v1, s0, v43, v1, s0
	s_delay_alu instid0(VALU_DEP_4)
	v_add_co_u32 v2, s0, v42, v2
	v_lshlrev_b64_e32 v[6:7], 4, v[6:7]
	s_wait_alu 0xf1ff
	v_add_co_ci_u32_e64 v3, s0, v43, v3, s0
	v_add_co_u32 v4, s0, v42, v4
	s_wait_alu 0xf1ff
	v_add_co_ci_u32_e64 v5, s0, v43, v5, s0
	v_add_co_u32 v6, s0, v42, v6
	s_wait_alu 0xf1ff
	v_add_co_ci_u32_e64 v7, s0, v43, v7, s0
	s_clause 0x3
	global_load_b128 v[20:23], v[0:1], off
	global_load_b128 v[24:27], v[2:3], off
	;; [unrolled: 1-line block ×4, first 2 shown]
	v_mad_co_u64_u32 v[8:9], null, s8, v12, 0
	v_add_nc_u32_e32 v35, 60, v53
	s_delay_alu instid0(VALU_DEP_2) | instskip(SKIP_1) | instid1(VALU_DEP_1)
	v_mad_co_u64_u32 v[12:13], null, s9, v12, v[9:10]
	v_mov_b32_e32 v9, v11
	v_mad_co_u64_u32 v[13:14], null, s9, v54, v[9:10]
	v_mad_co_u64_u32 v[14:15], null, s8, v51, 0
	s_delay_alu instid0(VALU_DEP_4) | instskip(NEXT) | instid1(VALU_DEP_3)
	v_mov_b32_e32 v9, v12
	v_mov_b32_e32 v11, v13
	s_delay_alu instid0(VALU_DEP_2) | instskip(NEXT) | instid1(VALU_DEP_4)
	v_lshlrev_b64_e32 v[0:1], 4, v[8:9]
	v_mov_b32_e32 v2, v15
	v_mad_co_u64_u32 v[8:9], null, s8, v58, 0
	s_delay_alu instid0(VALU_DEP_4) | instskip(SKIP_4) | instid1(VALU_DEP_4)
	v_lshlrev_b64_e32 v[3:4], 4, v[10:11]
	v_mad_co_u64_u32 v[10:11], null, s8, v35, 0
	v_add_co_u32 v0, s0, v42, v0
	s_wait_alu 0xf1ff
	v_add_co_ci_u32_e64 v1, s0, v43, v1, s0
	v_mad_co_u64_u32 v[5:6], null, s9, v51, v[2:3]
	v_mov_b32_e32 v2, v9
	v_add_co_u32 v12, s0, v42, v3
	s_wait_alu 0xf1ff
	v_add_co_ci_u32_e64 v13, s0, v43, v4, s0
	s_delay_alu instid0(VALU_DEP_3)
	v_mad_co_u64_u32 v[32:33], null, s9, v58, v[2:3]
	v_mov_b32_e32 v15, v5
	v_mad_co_u64_u32 v[33:34], null, s8, v56, 0
	s_clause 0x1
	global_load_b128 v[4:7], v[0:1], off
	global_load_b128 v[0:3], v[12:13], off
	v_lshlrev_b64_e32 v[12:13], 4, v[14:15]
	v_dual_mov_b32 v9, v32 :: v_dual_add_nc_u32 v32, 0x84, v53
	s_delay_alu instid0(VALU_DEP_2) | instskip(SKIP_2) | instid1(VALU_DEP_4)
	v_mad_co_u64_u32 v[14:15], null, s9, v35, v[11:12]
	v_mad_co_u64_u32 v[35:36], null, s8, v59, 0
	v_mov_b32_e32 v11, v34
	v_lshlrev_b64_e32 v[8:9], 4, v[8:9]
	s_delay_alu instid0(VALU_DEP_2)
	v_mad_co_u64_u32 v[37:38], null, s9, v56, v[11:12]
	v_mad_co_u64_u32 v[38:39], null, s8, v32, 0
	v_mov_b32_e32 v15, v36
	v_mov_b32_e32 v11, v14
	v_add_co_u32 v12, s0, v42, v12
	v_mov_b32_e32 v34, v37
	s_wait_alu 0xf1ff
	v_add_co_ci_u32_e64 v13, s0, v43, v13, s0
	v_lshlrev_b64_e32 v[10:11], 4, v[10:11]
	v_add_co_u32 v8, s0, v42, v8
	s_wait_alu 0xf1ff
	v_add_co_ci_u32_e64 v9, s0, v43, v9, s0
	s_delay_alu instid0(VALU_DEP_3)
	v_add_co_u32 v10, s0, v42, v10
	s_wait_alu 0xf1ff
	v_add_co_ci_u32_e64 v11, s0, v43, v11, s0
	s_wait_loadcnt 0x3
	v_mad_co_u64_u32 v[14:15], null, s9, v59, v[15:16]
	v_mov_b32_e32 v15, v39
	s_delay_alu instid0(VALU_DEP_1) | instskip(SKIP_1) | instid1(VALU_DEP_4)
	v_mad_co_u64_u32 v[39:40], null, s9, v32, v[15:16]
	v_lshlrev_b64_e32 v[32:33], 4, v[33:34]
	v_mov_b32_e32 v36, v14
	s_delay_alu instid0(VALU_DEP_1) | instskip(NEXT) | instid1(VALU_DEP_3)
	v_lshlrev_b64_e32 v[14:15], 4, v[35:36]
	v_add_co_u32 v40, s0, v42, v32
	s_wait_alu 0xf1ff
	s_delay_alu instid0(VALU_DEP_4) | instskip(SKIP_1) | instid1(VALU_DEP_4)
	v_add_co_ci_u32_e64 v41, s0, v43, v33, s0
	v_lshlrev_b64_e32 v[32:33], 4, v[38:39]
	v_add_co_u32 v14, s0, v42, v14
	s_wait_alu 0xf1ff
	v_add_co_ci_u32_e64 v15, s0, v43, v15, s0
	s_delay_alu instid0(VALU_DEP_3)
	v_add_co_u32 v60, s0, v42, v32
	s_wait_alu 0xf1ff
	v_add_co_ci_u32_e64 v61, s0, v43, v33, s0
	s_clause 0x5
	global_load_b128 v[32:35], v[12:13], off
	global_load_b128 v[44:47], v[8:9], off
	;; [unrolled: 1-line block ×6, first 2 shown]
	v_dual_mov_b32 v60, v51 :: v_dual_mov_b32 v61, v52
.LBB0_12:
	s_or_b32 exec_lo, exec_lo, s1
	s_wait_loadcnt 0x6
	v_add_f64_e32 v[62:63], v[2:3], v[30:31]
	s_wait_loadcnt 0x0
	v_add_f64_e32 v[64:65], v[42:43], v[14:15]
	v_add_f64_e32 v[66:67], v[0:1], v[28:29]
	;; [unrolled: 1-line block ×3, first 2 shown]
	v_add_f64_e64 v[70:71], v[28:29], -v[0:1]
	v_add_f64_e64 v[72:73], v[40:41], -v[12:13]
	;; [unrolled: 1-line block ×4, first 2 shown]
	s_mov_b32 s6, 0xe8584caa
	s_mov_b32 s7, 0xbfebb67a
	;; [unrolled: 1-line block ×3, first 2 shown]
	s_wait_alu 0xfffe
	s_mov_b32 s2, s6
	v_add_f64_e32 v[78:79], v[16:17], v[4:5]
	v_add_f64_e32 v[86:87], v[10:11], v[38:39]
	;; [unrolled: 1-line block ×5, first 2 shown]
	v_add_f64_e64 v[16:17], v[16:17], -v[4:5]
	v_mul_hi_u32 v92, 0xcccccccd, v50
	v_and_b32_e32 v93, 0xff, v60
	v_cmp_gt_u32_e64 s0, 6, v53
	v_fma_f64 v[62:63], v[62:63], -0.5, v[26:27]
	v_fma_f64 v[64:65], v[64:65], -0.5, v[46:47]
	;; [unrolled: 1-line block ×4, first 2 shown]
	v_add_f64_e32 v[24:25], v[24:25], v[28:29]
	v_add_f64_e32 v[26:27], v[26:27], v[30:31]
	v_add_f64_e64 v[28:29], v[18:19], -v[6:7]
	v_add_f64_e32 v[30:31], v[32:33], v[36:37]
	v_add_f64_e64 v[44:45], v[38:39], -v[10:11]
	v_add_f64_e32 v[38:39], v[34:35], v[38:39]
	v_fma_f64 v[20:21], v[78:79], -0.5, v[20:21]
	v_fma_f64 v[34:35], v[86:87], -0.5, v[34:35]
	v_add_f64_e32 v[86:87], v[4:5], v[90:91]
	v_add_f64_e32 v[40:41], v[12:13], v[40:41]
	v_add_nc_u32_e32 v4, -6, v53
	s_wait_alu 0xfffe
	v_fma_f64 v[80:81], v[70:71], s[2:3], v[62:63]
	v_fma_f64 v[62:63], v[70:71], s[6:7], v[62:63]
	v_add_f64_e32 v[70:71], v[8:9], v[36:37]
	v_fma_f64 v[82:83], v[72:73], s[2:3], v[64:65]
	v_fma_f64 v[64:65], v[72:73], s[6:7], v[64:65]
	v_add_f64_e32 v[72:73], v[18:19], v[6:7]
	v_fma_f64 v[84:85], v[74:75], s[6:7], v[66:67]
	v_fma_f64 v[88:89], v[76:77], s[6:7], v[68:69]
	;; [unrolled: 1-line block ×4, first 2 shown]
	v_add_f64_e32 v[18:19], v[18:19], v[22:23]
	v_add_f64_e64 v[36:37], v[36:37], -v[8:9]
	v_add_f64_e32 v[24:25], v[0:1], v[24:25]
	v_fma_f64 v[90:91], v[28:29], s[6:7], v[20:21]
	v_mul_lo_u16 v0, 0xab, v93
	v_lshrrev_b32_e32 v1, 3, v92
	v_add_f64_e32 v[26:27], v[2:3], v[26:27]
	v_add_f64_e32 v[30:31], v[8:9], v[30:31]
	v_fma_f64 v[28:29], v[28:29], s[2:3], v[20:21]
	v_add_f64_e32 v[38:39], v[10:11], v[38:39]
	v_mul_lo_u32 v1, v1, 10
	v_lshrrev_b16 v0, 10, v0
	s_delay_alu instid0(VALU_DEP_1) | instskip(SKIP_1) | instid1(VALU_DEP_4)
	v_mul_lo_u16 v2, v0, 6
	v_and_b32_e32 v0, 0xffff, v0
	v_sub_nc_u32_e32 v3, v50, v1
	s_delay_alu instid0(VALU_DEP_3) | instskip(NEXT) | instid1(VALU_DEP_3)
	v_sub_nc_u16 v2, v60, v2
	v_mad_u32_u24 v0, 0x120, v0, 0
	s_delay_alu instid0(VALU_DEP_2)
	v_and_b32_e32 v50, 0xff, v2
	v_mul_f64_e32 v[74:75], s[6:7], v[80:81]
	v_mul_f64_e32 v[78:79], s[6:7], v[62:63]
	v_fma_f64 v[32:33], v[70:71], -0.5, v[32:33]
	v_mul_f64_e32 v[70:71], s[6:7], v[82:83]
	v_mul_f64_e32 v[76:77], s[6:7], v[64:65]
	v_fma_f64 v[22:23], v[72:73], -0.5, v[22:23]
	v_mul_f64_e32 v[46:47], s[2:3], v[84:85]
	v_mul_f64_e32 v[62:63], -0.5, v[62:63]
	v_mul_f64_e32 v[72:73], s[2:3], v[88:89]
	v_mul_f64_e32 v[64:65], -0.5, v[64:65]
	v_fma_f64 v[96:97], v[36:37], s[6:7], v[34:35]
	v_add_f64_e64 v[9:10], v[86:87], -v[24:25]
	v_add_f64_e32 v[11:12], v[30:31], v[40:41]
	v_add_f64_e64 v[20:21], v[30:31], -v[40:41]
	v_fma_f64 v[74:75], v[84:85], 0.5, v[74:75]
	v_fma_f64 v[78:79], v[66:67], -0.5, v[78:79]
	v_fma_f64 v[84:85], v[44:45], s[6:7], v[32:33]
	v_fma_f64 v[32:33], v[44:45], s[2:3], v[32:33]
	v_fma_f64 v[44:45], v[88:89], 0.5, v[70:71]
	v_fma_f64 v[70:71], v[68:69], -0.5, v[76:77]
	v_add_f64_e32 v[76:77], v[6:7], v[18:19]
	v_fma_f64 v[92:93], v[16:17], s[2:3], v[22:23]
	v_fma_f64 v[46:47], v[80:81], 0.5, v[46:47]
	v_add_f64_e32 v[88:89], v[14:15], v[42:43]
	v_fma_f64 v[94:95], v[16:17], s[6:7], v[22:23]
	v_mov_b32_e32 v17, 0
	v_fma_f64 v[62:63], v[66:67], s[2:3], v[62:63]
	v_fma_f64 v[80:81], v[36:37], s[2:3], v[34:35]
	v_fma_f64 v[72:73], v[82:83], 0.5, v[72:73]
	v_fma_f64 v[82:83], v[68:69], s[2:3], v[64:65]
	s_wait_alu 0xf1ff
	v_cndmask_b32_e64 v1, v4, v53, s0
	v_mul_u32_u24_e32 v15, 0x90, v3
	v_add_f64_e32 v[3:4], v[24:25], v[86:87]
	s_delay_alu instid0(VALU_DEP_3) | instskip(NEXT) | instid1(VALU_DEP_3)
	v_mul_i32_i24_e32 v16, 5, v1
	v_lshlrev_b32_e32 v2, 3, v15
	v_lshlrev_b32_e32 v1, 3, v1
	s_delay_alu instid0(VALU_DEP_3) | instskip(NEXT) | instid1(VALU_DEP_1)
	v_lshlrev_b64_e32 v[15:16], 4, v[16:17]
	v_add_co_u32 v15, s0, s4, v15
	s_wait_alu 0xf1ff
	s_delay_alu instid0(VALU_DEP_2)
	v_add_co_ci_u32_e64 v16, s0, s5, v16, s0
	v_cmp_lt_u32_e64 s0, 5, v53
	v_add_f64_e32 v[5:6], v[90:91], v[74:75]
	v_add_f64_e32 v[7:8], v[28:29], v[78:79]
	v_add_f64_e64 v[22:23], v[90:91], -v[74:75]
	v_add_f64_e64 v[24:25], v[28:29], -v[78:79]
	v_add_f64_e32 v[13:14], v[84:85], v[44:45]
	v_add_f64_e64 v[30:31], v[84:85], -v[44:45]
	v_add_f64_e32 v[34:35], v[26:27], v[76:77]
	;; [unrolled: 2-line block ×3, first 2 shown]
	v_add_f64_e32 v[42:43], v[38:39], v[88:89]
	v_add_f64_e64 v[64:65], v[38:39], -v[88:89]
	v_add_f64_e64 v[66:67], v[92:93], -v[46:47]
	v_add_f64_e32 v[38:39], v[94:95], v[62:63]
	v_add_f64_e64 v[68:69], v[94:95], -v[62:63]
	v_add_f64_e32 v[44:45], v[80:81], v[72:73]
	v_add_f64_e32 v[18:19], v[32:33], v[70:71]
	;; [unrolled: 1-line block ×3, first 2 shown]
	v_add_f64_e64 v[32:33], v[32:33], -v[70:71]
	v_add_f64_e64 v[70:71], v[80:81], -v[72:73]
	;; [unrolled: 1-line block ×3, first 2 shown]
	v_mul_u32_u24_e32 v28, 6, v53
	v_add_nc_u32_e32 v75, 0, v2
	v_mul_i32_i24_e32 v29, 6, v60
	v_mul_u32_u24_e32 v74, 5, v50
	v_lshlrev_b32_e32 v50, 3, v50
	s_delay_alu instid0(VALU_DEP_4) | instskip(NEXT) | instid1(VALU_DEP_4)
	v_lshl_add_u32 v76, v28, 3, v75
	v_lshl_add_u32 v77, v29, 3, v75
	;; [unrolled: 1-line block ×3, first 2 shown]
	v_lshlrev_b32_e32 v78, 4, v74
	v_lshl_add_u32 v27, v61, 3, v75
	v_mad_i32_i24 v28, 0xffffffd8, v53, v76
	v_mad_i32_i24 v29, 0xffffffd8, v60, v77
	ds_store_b128 v76, v[3:6]
	ds_store_b128 v76, v[7:10] offset:16
	ds_store_b128 v76, v[22:25] offset:32
	ds_store_b128 v77, v[11:14]
	ds_store_b128 v77, v[18:21] offset:16
	ds_store_b128 v77, v[30:33] offset:32
	global_wb scope:SCOPE_SE
	s_wait_dscnt 0x0
	s_barrier_signal -1
	s_barrier_wait -1
	global_inv scope:SCOPE_SE
	ds_load_b64 v[46:47], v26
	ds_load_b64 v[86:87], v27
	ds_load_2addr_b64 v[3:6], v28 offset0:36 offset1:48
	ds_load_2addr_b64 v[7:10], v28 offset0:60 offset1:72
	;; [unrolled: 1-line block ×4, first 2 shown]
	ds_load_b64 v[88:89], v29
	ds_load_b64 v[90:91], v28 offset:1056
	global_wb scope:SCOPE_SE
	s_wait_dscnt 0x0
	s_barrier_signal -1
	s_barrier_wait -1
	global_inv scope:SCOPE_SE
	ds_store_b128 v76, v[34:37]
	ds_store_b128 v76, v[38:41] offset:16
	ds_store_b128 v76, v[66:69] offset:32
	ds_store_b128 v77, v[42:45]
	ds_store_b128 v77, v[62:65] offset:16
	ds_store_b128 v77, v[70:73] offset:32
	global_wb scope:SCOPE_SE
	s_wait_dscnt 0x0
	s_barrier_signal -1
	s_barrier_wait -1
	global_inv scope:SCOPE_SE
	s_clause 0x9
	global_load_b128 v[22:25], v[15:16], off offset:48
	global_load_b128 v[30:33], v78, s[4:5] offset:32
	global_load_b128 v[34:37], v[15:16], off
	global_load_b128 v[38:41], v78, s[4:5] offset:64
	global_load_b128 v[42:45], v[15:16], off offset:32
	global_load_b128 v[62:65], v[15:16], off offset:64
	;; [unrolled: 1-line block ×3, first 2 shown]
	global_load_b128 v[70:73], v78, s[4:5]
	global_load_b128 v[74:77], v78, s[4:5] offset:16
	global_load_b128 v[78:81], v78, s[4:5] offset:48
	ds_load_2addr_b64 v[82:85], v28 offset0:84 offset1:96
	ds_load_b64 v[94:95], v27
	s_wait_loadcnt_dscnt 0x901
	v_mul_f64_e32 v[15:16], v[84:85], v[24:25]
	v_mul_f64_e32 v[24:25], v[13:14], v[24:25]
	s_wait_loadcnt 0x8
	v_mul_f64_e32 v[92:93], v[82:83], v[32:33]
	v_mul_f64_e32 v[32:33], v[11:12], v[32:33]
	s_delay_alu instid0(VALU_DEP_4)
	v_fma_f64 v[96:97], v[13:14], v[22:23], v[15:16]
	ds_load_b64 v[15:16], v28 offset:1056
	ds_load_b64 v[98:99], v29
	v_fma_f64 v[84:85], v[84:85], v[22:23], -v[24:25]
	s_wait_loadcnt_dscnt 0x702
	v_mul_f64_e32 v[22:23], v[94:95], v[36:37]
	v_mul_f64_e32 v[24:25], v[86:87], v[36:37]
	v_fma_f64 v[92:93], v[11:12], v[30:31], v[92:93]
	ds_load_2addr_b64 v[11:14], v28 offset0:60 offset1:72
	v_fma_f64 v[30:31], v[82:83], v[30:31], -v[32:33]
	ds_load_b64 v[100:101], v26
	s_wait_loadcnt_dscnt 0x603
	v_mul_f64_e32 v[32:33], v[15:16], v[40:41]
	v_mul_f64_e32 v[40:41], v[90:91], v[40:41]
	s_wait_loadcnt_dscnt 0x501
	v_mul_f64_e32 v[82:83], v[13:14], v[44:45]
	v_mul_f64_e32 v[44:45], v[9:10], v[44:45]
	v_fma_f64 v[36:37], v[86:87], v[34:35], v[22:23]
	v_fma_f64 v[34:35], v[94:95], v[34:35], -v[24:25]
	ds_load_2addr_b64 v[22:25], v28 offset0:108 offset1:120
	v_fma_f64 v[32:33], v[90:91], v[38:39], v[32:33]
	v_fma_f64 v[38:39], v[15:16], v[38:39], -v[40:41]
	s_wait_loadcnt 0x4
	v_mul_f64_e32 v[40:41], v[20:21], v[64:65]
	s_wait_dscnt 0x0
	v_mul_f64_e32 v[64:65], v[24:25], v[64:65]
	v_fma_f64 v[9:10], v[9:10], v[42:43], v[82:83]
	v_fma_f64 v[42:43], v[13:14], v[42:43], -v[44:45]
	ds_load_2addr_b64 v[13:16], v28 offset0:36 offset1:48
	global_wb scope:SCOPE_SE
	s_wait_loadcnt_dscnt 0x0
	s_barrier_signal -1
	s_barrier_wait -1
	global_inv scope:SCOPE_SE
	v_mul_f64_e32 v[44:45], v[15:16], v[68:69]
	v_fma_f64 v[24:25], v[24:25], v[62:63], -v[40:41]
	v_mul_f64_e32 v[40:41], v[5:6], v[68:69]
	v_fma_f64 v[20:21], v[20:21], v[62:63], v[64:65]
	v_mul_f64_e32 v[62:63], v[3:4], v[72:73]
	v_fma_f64 v[5:6], v[5:6], v[66:67], v[44:45]
	v_mul_f64_e32 v[44:45], v[22:23], v[80:81]
	v_add_f64_e32 v[64:65], v[42:43], v[24:25]
	v_fma_f64 v[15:16], v[15:16], v[66:67], -v[40:41]
	v_mul_f64_e32 v[40:41], v[11:12], v[76:77]
	v_add_f64_e32 v[66:67], v[30:31], v[38:39]
	v_fma_f64 v[62:63], v[13:14], v[70:71], -v[62:63]
	v_mul_f64_e32 v[13:14], v[13:14], v[72:73]
	v_add_f64_e64 v[68:69], v[9:10], -v[20:21]
	v_add_f64_e64 v[72:73], v[92:93], -v[32:33]
	v_fma_f64 v[44:45], v[18:19], v[78:79], v[44:45]
	v_mul_f64_e32 v[18:19], v[18:19], v[80:81]
	v_fma_f64 v[64:65], v[64:65], -0.5, v[34:35]
	v_add_f64_e32 v[34:35], v[34:35], v[42:43]
	v_fma_f64 v[40:41], v[7:8], v[74:75], v[40:41]
	v_mul_f64_e32 v[7:8], v[7:8], v[76:77]
	v_fma_f64 v[66:67], v[66:67], -0.5, v[62:63]
	v_fma_f64 v[3:4], v[3:4], v[70:71], v[13:14]
	v_add_f64_e32 v[13:14], v[9:10], v[20:21]
	v_add_f64_e32 v[70:71], v[92:93], v[32:33]
	v_add_f64_e64 v[76:77], v[30:31], -v[38:39]
	v_add_f64_e32 v[9:10], v[36:37], v[9:10]
	v_add_f64_e32 v[30:31], v[62:63], v[30:31]
	v_add_f64_e32 v[82:83], v[88:89], v[40:41]
	v_fma_f64 v[7:8], v[11:12], v[74:75], -v[7:8]
	v_fma_f64 v[11:12], v[22:23], v[78:79], -v[18:19]
	v_add_f64_e32 v[18:19], v[5:6], v[96:97]
	v_add_f64_e64 v[22:23], v[42:43], -v[24:25]
	v_add_f64_e32 v[74:75], v[40:41], v[44:45]
	v_fma_f64 v[13:14], v[13:14], -0.5, v[36:37]
	v_fma_f64 v[78:79], v[68:69], s[2:3], v[64:65]
	v_fma_f64 v[64:65], v[68:69], s[6:7], v[64:65]
	v_fma_f64 v[68:69], v[70:71], -0.5, v[3:4]
	v_fma_f64 v[70:71], v[72:73], s[2:3], v[66:67]
	v_fma_f64 v[66:67], v[72:73], s[6:7], v[66:67]
	v_add_f64_e32 v[72:73], v[15:16], v[84:85]
	v_add_f64_e32 v[36:37], v[46:47], v[5:6]
	v_add_f64_e64 v[42:43], v[15:16], -v[84:85]
	v_add_f64_e32 v[3:4], v[3:4], v[92:93]
	v_add_f64_e32 v[15:16], v[100:101], v[15:16]
	v_add_f64_e64 v[5:6], v[5:6], -v[96:97]
	v_add_f64_e64 v[40:41], v[40:41], -v[44:45]
	v_add_f64_e32 v[9:10], v[9:10], v[20:21]
	v_add_f64_e32 v[24:25], v[34:35], v[24:25]
	;; [unrolled: 1-line block ×4, first 2 shown]
	v_fma_f64 v[18:19], v[18:19], -0.5, v[46:47]
	v_add_f64_e64 v[86:87], v[7:8], -v[11:12]
	v_fma_f64 v[46:47], v[74:75], -0.5, v[88:89]
	v_fma_f64 v[74:75], v[22:23], s[6:7], v[13:14]
	v_fma_f64 v[13:14], v[22:23], s[2:3], v[13:14]
	v_mul_f64_e32 v[22:23], s[6:7], v[78:79]
	v_mul_f64_e32 v[88:89], s[6:7], v[64:65]
	v_fma_f64 v[90:91], v[76:77], s[6:7], v[68:69]
	v_fma_f64 v[68:69], v[76:77], s[2:3], v[68:69]
	v_mul_f64_e32 v[76:77], s[6:7], v[70:71]
	v_mul_f64_e32 v[92:93], s[6:7], v[66:67]
	v_add_f64_e32 v[7:8], v[98:99], v[7:8]
	v_fma_f64 v[62:63], v[72:73], -0.5, v[100:101]
	v_mul_f64_e32 v[72:73], 0.5, v[78:79]
	v_mul_f64_e32 v[64:65], -0.5, v[64:65]
	v_mul_f64_e32 v[70:71], 0.5, v[70:71]
	v_mul_f64_e32 v[66:67], -0.5, v[66:67]
	v_add_f64_e32 v[36:37], v[36:37], v[96:97]
	v_add_f64_e32 v[3:4], v[3:4], v[32:33]
	v_add_f64_e32 v[15:16], v[15:16], v[84:85]
	v_fma_f64 v[78:79], v[80:81], -0.5, v[98:99]
	v_fma_f64 v[32:33], v[42:43], s[6:7], v[18:19]
	v_fma_f64 v[18:19], v[42:43], s[2:3], v[18:19]
	v_fma_f64 v[44:45], v[86:87], s[6:7], v[46:47]
	v_fma_f64 v[46:47], v[86:87], s[2:3], v[46:47]
	v_fma_f64 v[22:23], v[74:75], 0.5, v[22:23]
	v_fma_f64 v[42:43], v[13:14], -0.5, v[88:89]
	v_fma_f64 v[76:77], v[90:91], 0.5, v[76:77]
	v_fma_f64 v[80:81], v[68:69], -0.5, v[92:93]
	v_add_f64_e32 v[7:8], v[7:8], v[11:12]
	v_add_f64_e32 v[11:12], v[30:31], v[38:39]
	v_fma_f64 v[30:31], v[5:6], s[2:3], v[62:63]
	v_fma_f64 v[34:35], v[74:75], s[2:3], v[72:73]
	v_fma_f64 v[5:6], v[5:6], s[6:7], v[62:63]
	v_fma_f64 v[13:14], v[13:14], s[2:3], v[64:65]
	v_fma_f64 v[62:63], v[90:91], s[2:3], v[70:71]
	v_fma_f64 v[64:65], v[68:69], s[2:3], v[66:67]
	v_add_f64_e32 v[66:67], v[36:37], v[9:10]
	v_add_f64_e64 v[9:10], v[36:37], -v[9:10]
	v_add_f64_e32 v[36:37], v[20:21], v[3:4]
	v_add_f64_e64 v[3:4], v[20:21], -v[3:4]
	s_wait_alu 0xf1ff
	v_cndmask_b32_e64 v70, 0, 0x120, s0
	v_add_f64_e64 v[72:73], v[15:16], -v[24:25]
	s_delay_alu instid0(VALU_DEP_2) | instskip(NEXT) | instid1(VALU_DEP_1)
	v_add_nc_u32_e32 v70, 0, v70
	v_add3_u32 v86, v70, v1, v2
	v_add_f64_e32 v[70:71], v[15:16], v[24:25]
	v_add3_u32 v16, v0, v50, v2
	v_fma_f64 v[38:39], v[40:41], s[2:3], v[78:79]
	v_fma_f64 v[40:41], v[40:41], s[6:7], v[78:79]
	v_add_f64_e32 v[20:21], v[32:33], v[22:23]
	v_add_f64_e32 v[68:69], v[18:19], v[42:43]
	v_add_f64_e64 v[22:23], v[32:33], -v[22:23]
	v_add_f64_e64 v[18:19], v[18:19], -v[42:43]
	v_add_f64_e32 v[32:33], v[44:45], v[76:77]
	v_add_f64_e32 v[42:43], v[46:47], v[80:81]
	v_add_f64_e64 v[44:45], v[44:45], -v[76:77]
	v_add_f64_e64 v[46:47], v[46:47], -v[80:81]
	v_add_f64_e32 v[74:75], v[7:8], v[11:12]
	v_add_f64_e32 v[78:79], v[30:31], v[34:35]
	v_add_f64_e64 v[30:31], v[30:31], -v[34:35]
	v_add_f64_e32 v[80:81], v[5:6], v[13:14]
	v_add_f64_e64 v[34:35], v[5:6], -v[13:14]
	v_add_f64_e64 v[76:77], v[7:8], -v[11:12]
	ds_store_2addr_b64 v86, v[66:67], v[20:21] offset1:6
	ds_store_2addr_b64 v86, v[68:69], v[9:10] offset0:12 offset1:18
	ds_store_2addr_b64 v86, v[22:23], v[18:19] offset0:24 offset1:30
	ds_store_2addr_b64 v16, v[36:37], v[32:33] offset1:6
	ds_store_2addr_b64 v16, v[42:43], v[3:4] offset0:12 offset1:18
	ds_store_2addr_b64 v16, v[44:45], v[46:47] offset0:24 offset1:30
	v_add_f64_e32 v[82:83], v[38:39], v[62:63]
	v_add_f64_e32 v[84:85], v[40:41], v[64:65]
	v_add_f64_e64 v[38:39], v[38:39], -v[62:63]
	v_add_f64_e64 v[40:41], v[40:41], -v[64:65]
	global_wb scope:SCOPE_SE
	s_wait_dscnt 0x0
	s_barrier_signal -1
	s_barrier_wait -1
	global_inv scope:SCOPE_SE
	ds_load_2addr_b64 v[12:15], v28 offset0:36 offset1:48
	ds_load_2addr_b64 v[4:7], v28 offset0:60 offset1:72
	;; [unrolled: 1-line block ×4, first 2 shown]
	ds_load_b64 v[22:23], v26
	ds_load_b64 v[20:21], v27
	ds_load_b64 v[18:19], v29
	ds_load_b64 v[24:25], v28 offset:1056
	global_wb scope:SCOPE_SE
	s_wait_dscnt 0x0
	s_barrier_signal -1
	s_barrier_wait -1
	global_inv scope:SCOPE_SE
	ds_store_2addr_b64 v86, v[70:71], v[78:79] offset1:6
	ds_store_2addr_b64 v86, v[80:81], v[72:73] offset0:12 offset1:18
	ds_store_2addr_b64 v86, v[30:31], v[34:35] offset0:24 offset1:30
	ds_store_2addr_b64 v16, v[74:75], v[82:83] offset1:6
	ds_store_2addr_b64 v16, v[84:85], v[76:77] offset0:12 offset1:18
	ds_store_2addr_b64 v16, v[38:39], v[40:41] offset0:24 offset1:30
	global_wb scope:SCOPE_SE
	s_wait_dscnt 0x0
	s_barrier_signal -1
	s_barrier_wait -1
	global_inv scope:SCOPE_SE
	s_and_saveexec_b32 s0, vcc_lo
	s_cbranch_execz .LBB0_14
; %bb.13:
	v_mul_u32_u24_e32 v16, 3, v53
	v_mad_co_u64_u32 v[110:111], null, s8, v53, 0
	v_mul_hi_u32 v50, 0x38e38e39, v52
	s_delay_alu instid0(VALU_DEP_3)
	v_lshlrev_b32_e32 v38, 4, v16
	v_mul_i32_i24_e32 v16, 3, v61
	global_load_b128 v[30:33], v38, s[4:5] offset:496
	v_lshlrev_b64_e32 v[42:43], 4, v[16:17]
	v_mul_i32_i24_e32 v16, 3, v60
	s_clause 0x1
	global_load_b128 v[34:37], v38, s[4:5] offset:480
	global_load_b128 v[38:41], v38, s[4:5] offset:512
	v_lshlrev_b64_e32 v[16:17], 4, v[16:17]
	v_add_co_u32 v46, vcc_lo, s4, v42
	s_wait_alu 0xfffd
	v_add_co_ci_u32_e32 v47, vcc_lo, s5, v43, vcc_lo
	s_delay_alu instid0(VALU_DEP_3)
	v_add_co_u32 v16, vcc_lo, s4, v16
	s_wait_alu 0xfffd
	v_add_co_ci_u32_e32 v17, vcc_lo, s5, v17, vcc_lo
	s_clause 0x5
	global_load_b128 v[42:45], v[46:47], off offset:480
	global_load_b128 v[60:63], v[46:47], off offset:496
	;; [unrolled: 1-line block ×6, first 2 shown]
	ds_load_2addr_b64 v[80:83], v28 offset0:60 offset1:72
	ds_load_2addr_b64 v[84:87], v28 offset0:84 offset1:96
	;; [unrolled: 1-line block ×3, first 2 shown]
	s_wait_loadcnt_dscnt 0x802
	v_mul_f64_e32 v[16:17], v[82:83], v[32:33]
	v_mul_f64_e32 v[32:33], v[6:7], v[32:33]
	s_wait_loadcnt 0x7
	v_mul_f64_e32 v[46:47], v[12:13], v[34:35]
	v_mul_f64_e32 v[12:13], v[12:13], v[36:37]
	s_wait_loadcnt 0x6
	;; [unrolled: 3-line block ×4, first 2 shown]
	v_mul_f64_e32 v[98:99], v[2:3], v[62:63]
	s_wait_dscnt 0x1
	v_mul_f64_e32 v[62:63], v[86:87], v[62:63]
	s_wait_loadcnt 0x3
	v_mul_f64_e32 v[100:101], v[14:15], v[64:65]
	v_mul_f64_e32 v[14:15], v[14:15], v[66:67]
	s_wait_loadcnt 0x2
	v_mul_f64_e32 v[102:103], v[0:1], v[70:71]
	s_wait_loadcnt 0x1
	v_mul_f64_e32 v[104:105], v[10:11], v[74:75]
	v_mul_f64_e32 v[70:71], v[84:85], v[70:71]
	;; [unrolled: 1-line block ×3, first 2 shown]
	s_wait_loadcnt 0x0
	v_mul_f64_e32 v[106:107], v[24:25], v[78:79]
	v_mul_f64_e32 v[24:25], v[24:25], v[76:77]
	v_fma_f64 v[16:17], v[6:7], v[30:31], v[16:17]
	ds_load_2addr_b64 v[4:7], v28 offset0:108 offset1:120
	ds_load_b64 v[108:109], v29
	v_fma_f64 v[29:30], v[82:83], v[30:31], -v[32:33]
	ds_load_b64 v[31:32], v28 offset:1056
	ds_load_b64 v[27:28], v27
	ds_load_b64 v[82:83], v26
	s_wait_dscnt 0x5
	v_fma_f64 v[36:37], v[88:89], v[36:37], v[46:47]
	v_fma_f64 v[12:13], v[88:89], v[34:35], -v[12:13]
	v_mad_co_u64_u32 v[46:47], null, s8, v57, 0
	v_mad_co_u64_u32 v[33:34], null, s8, v58, 0
	s_delay_alu instid0(VALU_DEP_2)
	v_mov_b32_e32 v35, v47
	v_fma_f64 v[2:3], v[2:3], v[60:61], v[62:63]
	v_fma_f64 v[14:15], v[90:91], v[64:65], -v[14:15]
	v_mad_co_u64_u32 v[64:65], null, s8, v51, 0
	s_wait_dscnt 0x4
	v_fma_f64 v[40:41], v[4:5], v[40:41], v[92:93]
	v_fma_f64 v[4:5], v[4:5], v[38:39], -v[8:9]
	v_fma_f64 v[8:9], v[80:81], v[44:45], v[94:95]
	v_fma_f64 v[38:39], v[80:81], v[42:43], -v[96:97]
	v_fma_f64 v[42:43], v[86:87], v[60:61], -v[98:99]
	v_fma_f64 v[44:45], v[90:91], v[66:67], v[100:101]
	v_fma_f64 v[60:61], v[84:85], v[68:69], -v[102:103]
	v_fma_f64 v[62:63], v[6:7], v[72:73], -v[104:105]
	v_fma_f64 v[0:1], v[0:1], v[68:69], v[70:71]
	v_fma_f64 v[6:7], v[6:7], v[74:75], v[10:11]
	s_wait_dscnt 0x2
	v_fma_f64 v[10:11], v[31:32], v[76:77], -v[106:107]
	v_fma_f64 v[24:25], v[31:32], v[78:79], v[24:25]
	v_mad_co_u64_u32 v[70:71], null, s8, v54, 0
	v_dual_mov_b32 v26, v111 :: v_dual_mov_b32 v47, v65
	v_lshrrev_b32_e32 v65, 3, v50
	v_mad_co_u64_u32 v[66:67], null, s8, v55, 0
	s_wait_dscnt 0x0
	v_add_f64_e64 v[29:30], v[82:83], -v[29:30]
	v_mov_b32_e32 v50, v71
	v_mad_co_u64_u32 v[71:72], null, s9, v53, v[26:27]
	v_add_f64_e64 v[72:73], v[22:23], -v[16:17]
	v_mad_co_u64_u32 v[68:69], null, s8, v56, 0
	v_mad_co_u64_u32 v[31:32], null, s8, v59, 0
	v_add_co_u32 v96, vcc_lo, s10, v48
	v_mov_b32_e32 v48, v67
	s_wait_alu 0xfffd
	v_add_co_ci_u32_e32 v97, vcc_lo, s11, v49, vcc_lo
	v_mov_b32_e32 v49, v69
	v_mov_b32_e32 v111, v71
	v_add_f64_e64 v[16:17], v[36:37], -v[40:41]
	v_add_f64_e64 v[4:5], v[12:13], -v[4:5]
	;; [unrolled: 1-line block ×10, first 2 shown]
	v_mad_co_u64_u32 v[0:1], null, s9, v58, v[34:35]
	v_mad_co_u64_u32 v[1:2], null, s9, v57, v[35:36]
	;; [unrolled: 1-line block ×3, first 2 shown]
	v_mad_u32_u24 v3, 0x6c, v65, v52
	v_mad_co_u64_u32 v[24:25], null, s9, v51, v[47:48]
	v_mad_co_u64_u32 v[25:26], null, s9, v55, v[48:49]
	s_delay_alu instid0(VALU_DEP_3)
	v_add_nc_u32_e32 v95, 0x6c, v3
	v_mad_co_u64_u32 v[48:49], null, s9, v56, v[49:50]
	v_mad_co_u64_u32 v[49:50], null, s9, v54, v[50:51]
	v_fma_f64 v[52:53], v[82:83], 2.0, -v[29:30]
	v_fma_f64 v[54:55], v[22:23], 2.0, -v[72:73]
	v_dual_mov_b32 v34, v0 :: v_dual_mov_b32 v65, v24
	v_dual_mov_b32 v32, v2 :: v_dual_mov_b32 v67, v25
	v_mad_co_u64_u32 v[50:51], null, s8, v3, 0
	v_add_nc_u32_e32 v92, 36, v3
	v_dual_mov_b32 v47, v1 :: v_dual_add_nc_u32 v94, 0x48, v3
	v_fma_f64 v[12:13], v[12:13], 2.0, -v[4:5]
	v_fma_f64 v[22:23], v[36:37], 2.0, -v[16:17]
	v_dual_mov_b32 v69, v48 :: v_dual_mov_b32 v2, v51
	v_fma_f64 v[58:59], v[20:21], 2.0, -v[42:43]
	v_fma_f64 v[78:79], v[108:109], 2.0, -v[60:61]
	;; [unrolled: 1-line block ×8, first 2 shown]
	v_mov_b32_e32 v71, v49
	v_mad_co_u64_u32 v[48:49], null, s8, v92, 0
	v_lshlrev_b64_e32 v[0:1], 4, v[110:111]
	v_lshlrev_b64_e32 v[44:45], 4, v[64:65]
	;; [unrolled: 1-line block ×3, first 2 shown]
	v_mad_co_u64_u32 v[68:69], null, s9, v3, v[2:3]
	v_lshlrev_b64_e32 v[37:38], 4, v[46:47]
	v_mov_b32_e32 v28, v49
	v_add_co_u32 v69, vcc_lo, v96, v0
	v_lshlrev_b64_e32 v[46:47], 4, v[66:67]
	v_lshlrev_b64_e32 v[66:67], 4, v[70:71]
	s_wait_alu 0xfffd
	v_add_co_ci_u32_e32 v70, vcc_lo, v97, v1, vcc_lo
	v_add_f64_e64 v[2:3], v[29:30], -v[16:17]
	v_add_f64_e32 v[0:1], v[72:73], v[4:5]
	v_add_f64_e64 v[10:11], v[40:41], -v[10:11]
	v_add_f64_e32 v[8:9], v[42:43], v[76:77]
	;; [unrolled: 2-line block ×3, first 2 shown]
	v_lshlrev_b64_e32 v[33:34], 4, v[33:34]
	v_mad_co_u64_u32 v[82:83], null, s8, v94, 0
	v_lshlrev_b64_e32 v[31:32], 4, v[31:32]
	v_add_f64_e64 v[14:15], v[52:53], -v[12:13]
	v_add_f64_e64 v[12:13], v[54:55], -v[22:23]
	v_add_co_u32 v62, vcc_lo, v96, v33
	s_wait_alu 0xfffd
	v_add_co_ci_u32_e32 v63, vcc_lo, v97, v34, vcc_lo
	v_add_f64_e64 v[18:19], v[78:79], -v[20:21]
	v_add_co_u32 v76, vcc_lo, v96, v37
	v_add_f64_e64 v[16:17], v[80:81], -v[24:25]
	v_add_f64_e64 v[22:23], v[56:57], -v[26:27]
	;; [unrolled: 1-line block ×3, first 2 shown]
	s_wait_alu 0xfffd
	v_add_co_ci_u32_e32 v77, vcc_lo, v97, v38, vcc_lo
	v_add_co_u32 v86, vcc_lo, v96, v31
	v_mov_b32_e32 v39, v83
	s_wait_alu 0xfffd
	v_add_co_ci_u32_e32 v87, vcc_lo, v97, v32, vcc_lo
	v_add_co_u32 v88, vcc_lo, v96, v44
	v_mad_co_u64_u32 v[92:93], null, s9, v92, v[28:29]
	v_mad_co_u64_u32 v[84:85], null, s8, v95, 0
	;; [unrolled: 1-line block ×3, first 2 shown]
	s_wait_alu 0xfffd
	v_add_co_ci_u32_e32 v89, vcc_lo, v97, v45, vcc_lo
	v_fma_f64 v[26:27], v[29:30], 2.0, -v[2:3]
	v_fma_f64 v[24:25], v[72:73], 2.0, -v[0:1]
	;; [unrolled: 1-line block ×6, first 2 shown]
	v_add_co_u32 v90, vcc_lo, v96, v46
	s_wait_alu 0xfffd
	v_add_co_ci_u32_e32 v91, vcc_lo, v97, v47, vcc_lo
	v_fma_f64 v[34:35], v[52:53], 2.0, -v[14:15]
	v_fma_f64 v[32:33], v[54:55], 2.0, -v[12:13]
	v_mov_b32_e32 v49, v85
	v_mov_b32_e32 v51, v68
	v_add_co_u32 v52, vcc_lo, v96, v64
	v_fma_f64 v[42:43], v[78:79], 2.0, -v[18:19]
	s_delay_alu instid0(VALU_DEP_4)
	v_mad_co_u64_u32 v[94:95], null, s9, v95, v[49:50]
	v_fma_f64 v[40:41], v[80:81], 2.0, -v[16:17]
	v_fma_f64 v[46:47], v[56:57], 2.0, -v[22:23]
	;; [unrolled: 1-line block ×3, first 2 shown]
	v_mov_b32_e32 v49, v92
	v_lshlrev_b64_e32 v[50:51], 4, v[50:51]
	v_mov_b32_e32 v83, v93
	s_wait_alu 0xfffd
	v_add_co_ci_u32_e32 v53, vcc_lo, v97, v65, vcc_lo
	v_add_co_u32 v54, vcc_lo, v96, v66
	v_lshlrev_b64_e32 v[48:49], 4, v[48:49]
	v_mov_b32_e32 v85, v94
	s_wait_alu 0xfffd
	v_add_co_ci_u32_e32 v55, vcc_lo, v97, v67, vcc_lo
	v_lshlrev_b64_e32 v[56:57], 4, v[82:83]
	v_add_co_u32 v50, vcc_lo, v96, v50
	s_wait_alu 0xfffd
	v_add_co_ci_u32_e32 v51, vcc_lo, v97, v51, vcc_lo
	v_lshlrev_b64_e32 v[58:59], 4, v[84:85]
	v_add_co_u32 v48, vcc_lo, v96, v48
	s_wait_alu 0xfffd
	v_add_co_ci_u32_e32 v49, vcc_lo, v97, v49, vcc_lo
	v_add_co_u32 v56, vcc_lo, v96, v56
	s_wait_alu 0xfffd
	v_add_co_ci_u32_e32 v57, vcc_lo, v97, v57, vcc_lo
	;; [unrolled: 3-line block ×3, first 2 shown]
	s_clause 0xb
	global_store_b128 v[69:70], v[32:35], off
	global_store_b128 v[62:63], v[24:27], off
	;; [unrolled: 1-line block ×12, first 2 shown]
.LBB0_14:
	s_nop 0
	s_sendmsg sendmsg(MSG_DEALLOC_VGPRS)
	s_endpgm
	.section	.rodata,"a",@progbits
	.p2align	6, 0x0
	.amdhsa_kernel fft_rtc_back_len144_factors_6_6_4_wgs_120_tpt_12_halfLds_dp_ip_CI_sbrr_dirReg
		.amdhsa_group_segment_fixed_size 0
		.amdhsa_private_segment_fixed_size 0
		.amdhsa_kernarg_size 88
		.amdhsa_user_sgpr_count 2
		.amdhsa_user_sgpr_dispatch_ptr 0
		.amdhsa_user_sgpr_queue_ptr 0
		.amdhsa_user_sgpr_kernarg_segment_ptr 1
		.amdhsa_user_sgpr_dispatch_id 0
		.amdhsa_user_sgpr_private_segment_size 0
		.amdhsa_wavefront_size32 1
		.amdhsa_uses_dynamic_stack 0
		.amdhsa_enable_private_segment 0
		.amdhsa_system_sgpr_workgroup_id_x 1
		.amdhsa_system_sgpr_workgroup_id_y 0
		.amdhsa_system_sgpr_workgroup_id_z 0
		.amdhsa_system_sgpr_workgroup_info 0
		.amdhsa_system_vgpr_workitem_id 0
		.amdhsa_next_free_vgpr 112
		.amdhsa_next_free_sgpr 35
		.amdhsa_reserve_vcc 1
		.amdhsa_float_round_mode_32 0
		.amdhsa_float_round_mode_16_64 0
		.amdhsa_float_denorm_mode_32 3
		.amdhsa_float_denorm_mode_16_64 3
		.amdhsa_fp16_overflow 0
		.amdhsa_workgroup_processor_mode 1
		.amdhsa_memory_ordered 1
		.amdhsa_forward_progress 0
		.amdhsa_round_robin_scheduling 0
		.amdhsa_exception_fp_ieee_invalid_op 0
		.amdhsa_exception_fp_denorm_src 0
		.amdhsa_exception_fp_ieee_div_zero 0
		.amdhsa_exception_fp_ieee_overflow 0
		.amdhsa_exception_fp_ieee_underflow 0
		.amdhsa_exception_fp_ieee_inexact 0
		.amdhsa_exception_int_div_zero 0
	.end_amdhsa_kernel
	.text
.Lfunc_end0:
	.size	fft_rtc_back_len144_factors_6_6_4_wgs_120_tpt_12_halfLds_dp_ip_CI_sbrr_dirReg, .Lfunc_end0-fft_rtc_back_len144_factors_6_6_4_wgs_120_tpt_12_halfLds_dp_ip_CI_sbrr_dirReg
                                        ; -- End function
	.section	.AMDGPU.csdata,"",@progbits
; Kernel info:
; codeLenInByte = 6448
; NumSgprs: 37
; NumVgprs: 112
; ScratchSize: 0
; MemoryBound: 1
; FloatMode: 240
; IeeeMode: 1
; LDSByteSize: 0 bytes/workgroup (compile time only)
; SGPRBlocks: 4
; VGPRBlocks: 13
; NumSGPRsForWavesPerEU: 37
; NumVGPRsForWavesPerEU: 112
; Occupancy: 12
; WaveLimiterHint : 1
; COMPUTE_PGM_RSRC2:SCRATCH_EN: 0
; COMPUTE_PGM_RSRC2:USER_SGPR: 2
; COMPUTE_PGM_RSRC2:TRAP_HANDLER: 0
; COMPUTE_PGM_RSRC2:TGID_X_EN: 1
; COMPUTE_PGM_RSRC2:TGID_Y_EN: 0
; COMPUTE_PGM_RSRC2:TGID_Z_EN: 0
; COMPUTE_PGM_RSRC2:TIDIG_COMP_CNT: 0
	.text
	.p2alignl 7, 3214868480
	.fill 96, 4, 3214868480
	.type	__hip_cuid_3c9e631b2f73767c,@object ; @__hip_cuid_3c9e631b2f73767c
	.section	.bss,"aw",@nobits
	.globl	__hip_cuid_3c9e631b2f73767c
__hip_cuid_3c9e631b2f73767c:
	.byte	0                               ; 0x0
	.size	__hip_cuid_3c9e631b2f73767c, 1

	.ident	"AMD clang version 19.0.0git (https://github.com/RadeonOpenCompute/llvm-project roc-6.4.0 25133 c7fe45cf4b819c5991fe208aaa96edf142730f1d)"
	.section	".note.GNU-stack","",@progbits
	.addrsig
	.addrsig_sym __hip_cuid_3c9e631b2f73767c
	.amdgpu_metadata
---
amdhsa.kernels:
  - .args:
      - .actual_access:  read_only
        .address_space:  global
        .offset:         0
        .size:           8
        .value_kind:     global_buffer
      - .offset:         8
        .size:           8
        .value_kind:     by_value
      - .actual_access:  read_only
        .address_space:  global
        .offset:         16
        .size:           8
        .value_kind:     global_buffer
      - .actual_access:  read_only
        .address_space:  global
        .offset:         24
        .size:           8
        .value_kind:     global_buffer
      - .offset:         32
        .size:           8
        .value_kind:     by_value
      - .actual_access:  read_only
        .address_space:  global
        .offset:         40
        .size:           8
        .value_kind:     global_buffer
      - .actual_access:  read_only
        .address_space:  global
        .offset:         48
        .size:           8
        .value_kind:     global_buffer
      - .offset:         56
        .size:           4
        .value_kind:     by_value
      - .actual_access:  read_only
        .address_space:  global
        .offset:         64
        .size:           8
        .value_kind:     global_buffer
      - .actual_access:  read_only
        .address_space:  global
        .offset:         72
        .size:           8
        .value_kind:     global_buffer
      - .address_space:  global
        .offset:         80
        .size:           8
        .value_kind:     global_buffer
    .group_segment_fixed_size: 0
    .kernarg_segment_align: 8
    .kernarg_segment_size: 88
    .language:       OpenCL C
    .language_version:
      - 2
      - 0
    .max_flat_workgroup_size: 120
    .name:           fft_rtc_back_len144_factors_6_6_4_wgs_120_tpt_12_halfLds_dp_ip_CI_sbrr_dirReg
    .private_segment_fixed_size: 0
    .sgpr_count:     37
    .sgpr_spill_count: 0
    .symbol:         fft_rtc_back_len144_factors_6_6_4_wgs_120_tpt_12_halfLds_dp_ip_CI_sbrr_dirReg.kd
    .uniform_work_group_size: 1
    .uses_dynamic_stack: false
    .vgpr_count:     112
    .vgpr_spill_count: 0
    .wavefront_size: 32
    .workgroup_processor_mode: 1
amdhsa.target:   amdgcn-amd-amdhsa--gfx1201
amdhsa.version:
  - 1
  - 2
...

	.end_amdgpu_metadata
